;; amdgpu-corpus repo=ROCm/rocFFT kind=compiled arch=gfx950 opt=O3
	.text
	.amdgcn_target "amdgcn-amd-amdhsa--gfx950"
	.amdhsa_code_object_version 6
	.protected	fft_rtc_fwd_len1331_factors_11_11_11_wgs_121_tpt_121_sp_op_CI_CI_sbrc_z_xy_unaligned_dirReg ; -- Begin function fft_rtc_fwd_len1331_factors_11_11_11_wgs_121_tpt_121_sp_op_CI_CI_sbrc_z_xy_unaligned_dirReg
	.globl	fft_rtc_fwd_len1331_factors_11_11_11_wgs_121_tpt_121_sp_op_CI_CI_sbrc_z_xy_unaligned_dirReg
	.p2align	8
	.type	fft_rtc_fwd_len1331_factors_11_11_11_wgs_121_tpt_121_sp_op_CI_CI_sbrc_z_xy_unaligned_dirReg,@function
fft_rtc_fwd_len1331_factors_11_11_11_wgs_121_tpt_121_sp_op_CI_CI_sbrc_z_xy_unaligned_dirReg: ; @fft_rtc_fwd_len1331_factors_11_11_11_wgs_121_tpt_121_sp_op_CI_CI_sbrc_z_xy_unaligned_dirReg
; %bb.0:
	s_load_dwordx8 s[16:23], s[0:1], 0x0
	v_mov_b32_e32 v7, 0
	s_movk_i32 s52, 0x3c8
	v_cmp_gt_u32_e32 vcc, s52, v0
	s_movk_i32 s10, 0xf2
	s_waitcnt lgkmcnt(0)
	s_load_dwordx4 s[4:7], s[20:21], 0x8
	v_cmp_gt_u32_e64 s[10:11], s10, v0
	s_waitcnt lgkmcnt(0)
	s_mul_i32 s3, s6, s4
	v_cvt_f32_u32_e32 v2, s3
	v_cvt_f32_u32_e32 v1, s4
	s_sub_i32 s5, 0, s3
	v_rcp_iflag_f32_e32 v2, v2
	v_rcp_iflag_f32_e32 v1, v1
	v_mul_f32_e32 v2, 0x4f7ffffe, v2
	v_cvt_u32_f32_e32 v2, v2
	v_mul_f32_e32 v1, 0x4f7ffffe, v1
	v_cvt_u32_f32_e32 v1, v1
	v_readfirstlane_b32 s7, v2
	s_mul_i32 s5, s5, s7
	s_mul_hi_u32 s5, s7, s5
	s_add_i32 s7, s7, s5
	s_mul_hi_u32 s5, s2, s7
	s_mul_i32 s7, s5, s3
	s_sub_i32 s7, s2, s7
	s_add_i32 s8, s5, 1
	s_sub_i32 s9, s7, s3
	s_cmp_ge_u32 s7, s3
	s_cselect_b32 s5, s8, s5
	s_cselect_b32 s7, s9, s7
	s_add_i32 s8, s5, 1
	s_cmp_ge_u32 s7, s3
	v_readfirstlane_b32 s6, v1
	s_cselect_b32 s33, s8, s5
	s_sub_i32 s5, 0, s4
	s_mul_i32 s5, s5, s6
	s_mul_i32 s3, s33, s3
	s_mul_hi_u32 s5, s6, s5
	s_sub_i32 s3, s2, s3
	s_add_i32 s6, s6, s5
	s_mul_hi_u32 s5, s3, s6
	s_mul_i32 s7, s5, s4
	s_sub_i32 s3, s3, s7
	s_add_i32 s8, s5, 1
	s_sub_i32 s7, s3, s4
	s_cmp_ge_u32 s3, s4
	s_cselect_b32 s5, s8, s5
	s_mul_hi_u32 s6, s2, s6
	s_cselect_b32 s3, s7, s3
	s_add_i32 s7, s5, 1
	s_mul_i32 s6, s6, s4
	s_cmp_ge_u32 s3, s4
	s_cselect_b32 s20, s7, s5
	s_sub_i32 s5, s2, s6
	s_load_dwordx2 s[2:3], s[0:1], 0x20
	s_sub_i32 s6, s5, s4
	s_cmp_ge_u32 s5, s4
	s_load_dwordx4 s[12:15], s[0:1], 0x58
	s_waitcnt lgkmcnt(0)
	s_load_dwordx4 s[24:27], s[2:3], 0x0
	s_cselect_b32 s5, s6, s5
	s_sub_i32 s0, s5, s4
	s_cmp_ge_u32 s5, s4
	s_cselect_b32 s50, s0, s5
	s_waitcnt lgkmcnt(0)
	s_mul_i32 s0, s25, s50
	s_mul_hi_u32 s1, s24, s50
	s_add_i32 s21, s1, s0
	s_lshl_b64 s[0:1], s[18:19], 3
	s_load_dword s51, s[2:3], 0x10
	s_add_u32 s2, s2, s0
	s_addc_u32 s3, s3, s1
	s_load_dwordx2 s[18:19], s[2:3], 0x0
	s_mov_b32 s27, 0
	v_add_u32_e32 v1, 0x79, v0
	s_movk_i32 s6, 0x1e4
	v_cmp_gt_u32_e64 s[6:7], s6, v0
	s_waitcnt lgkmcnt(0)
	s_mul_i32 s2, s19, s33
	s_mul_hi_u32 s3, s18, s33
	s_add_i32 s19, s3, s2
	s_add_u32 s0, s22, s0
	s_addc_u32 s1, s23, s1
	s_load_dwordx2 s[2:3], s[0:1], 0x0
	s_load_dwordx4 s[28:31], s[22:23], 0x0
	s_load_dword s4, s[22:23], 0x10
	s_movk_i32 s8, 0x16b
	v_cmp_gt_u32_e64 s[8:9], s8, v0
	s_waitcnt lgkmcnt(0)
	s_mul_i32 s0, s3, s33
	s_mul_hi_u32 s1, s2, s33
	s_add_i32 s1, s1, s0
	s_mul_i32 s0, s2, s33
	s_mul_i32 s2, s20, s4
	v_mad_u64_u32 v[2:3], s[4:5], s28, v0, 0
	s_mul_i32 s3, s50, s30
	v_mov_b32_e32 v4, v3
	s_add_i32 s2, s3, s2
	v_mad_u64_u32 v[4:5], s[4:5], s29, v0, v[4:5]
	s_lshl_b64 s[0:1], s[0:1], 3
	s_mov_b32 s3, s27
	s_add_u32 s4, s12, s0
	s_addc_u32 s5, s13, s1
	s_lshl_b64 s[0:1], s[2:3], 3
	s_add_u32 s22, s4, s0
	v_mov_b32_e32 v3, v4
	s_addc_u32 s23, s5, s1
	v_mad_u64_u32 v[4:5], s[0:1], s28, v1, 0
	v_mov_b32_e32 v6, v5
	v_mad_u64_u32 v[8:9], s[0:1], s29, v1, v[6:7]
	v_add_u32_e32 v1, 0xf2, v0
	v_mov_b32_e32 v5, v8
	v_mad_u64_u32 v[8:9], s[0:1], s28, v1, 0
	v_mov_b32_e32 v6, v9
	v_mad_u64_u32 v[10:11], s[0:1], s29, v1, v[6:7]
	v_mov_b32_e32 v1, 0xfffffc38
	v_mov_b32_e32 v6, 0x16b
	v_cndmask_b32_e32 v28, v1, v6, vcc
	v_add_u32_e32 v1, v28, v0
	v_mov_b32_e32 v9, v10
	v_mad_u64_u32 v[10:11], s[0:1], s28, v1, 0
	v_mov_b32_e32 v6, v11
	v_mad_u64_u32 v[12:13], s[0:1], s29, v1, v[6:7]
	s_movk_i32 s0, 0x3c7
	v_mov_b32_e32 v11, v12
	v_mov_b32_e32 v1, s30
	v_cmp_lt_u32_e32 vcc, s0, v0
	v_lshl_add_u64 v[2:3], v[2:3], 3, s[22:23]
	v_lshl_add_u64 v[10:11], v[10:11], 3, s[22:23]
	v_cndmask_b32_e32 v6, 0, v1, vcc
	s_movk_i32 s0, 0x34f
	v_lshl_add_u64 v[4:5], v[4:5], 3, s[22:23]
	v_lshl_add_u64 v[8:9], v[8:9], 3, s[22:23]
	;; [unrolled: 1-line block ×3, first 2 shown]
	global_load_dwordx2 v[12:13], v[2:3], off
	global_load_dwordx2 v[14:15], v[4:5], off
	;; [unrolled: 1-line block ×4, first 2 shown]
	v_mov_b32_e32 v2, 0xfffffcb1
	v_mov_b32_e32 v3, 0x1e4
	v_cmp_gt_u32_e64 s[0:1], s0, v0
	s_movk_i32 s2, 0x2d6
	v_cmp_gt_u32_e64 s[2:3], s2, v0
	v_cndmask_b32_e64 v29, v2, v3, s[0:1]
	v_add_u32_e32 v5, v29, v0
	v_mad_u64_u32 v[2:3], s[0:1], s28, v5, 0
	v_mov_b32_e32 v4, v3
	v_mad_u64_u32 v[4:5], s[0:1], s29, v5, v[4:5]
	v_mov_b32_e32 v3, v4
	v_mov_b32_e32 v4, 0xfffffd2a
	v_mov_b32_e32 v5, 0x25d
	s_movk_i32 s0, 0x34e
	v_cndmask_b32_e64 v30, v4, v5, s[2:3]
	v_cmp_lt_u32_e64 s[0:1], s0, v0
	v_add_u32_e32 v8, v30, v0
	v_lshl_add_u64 v[2:3], v[2:3], 3, s[22:23]
	v_cndmask_b32_e64 v6, 0, v1, s[0:1]
	v_mad_u64_u32 v[4:5], s[2:3], s28, v8, 0
	v_lshl_add_u64 v[2:3], v[6:7], 3, v[2:3]
	v_mov_b32_e32 v6, v5
	v_mad_u64_u32 v[8:9], s[2:3], s29, v8, v[6:7]
	s_movk_i32 s2, 0x2d5
	v_mov_b32_e32 v5, v8
	v_cmp_lt_u32_e64 s[2:3], s2, v0
	s_movk_i32 s4, 0x25d
	v_lshl_add_u64 v[4:5], v[4:5], 3, s[22:23]
	v_cndmask_b32_e64 v6, 0, v1, s[2:3]
	v_lshl_add_u64 v[4:5], v[6:7], 3, v[4:5]
	v_mov_b32_e32 v6, 0xfffffda3
	v_mov_b32_e32 v8, 0x2d6
	v_cmp_gt_u32_e64 s[4:5], s4, v0
	s_movk_i32 s25, 0x79
	v_cmp_gt_u32_e64 s[12:13], s25, v0
	v_cndmask_b32_e64 v31, v6, v8, s[4:5]
	v_add_u32_e32 v10, v31, v0
	v_mad_u64_u32 v[8:9], s[4:5], s28, v10, 0
	v_mov_b32_e32 v6, v9
	v_mad_u64_u32 v[10:11], s[4:5], s29, v10, v[6:7]
	s_movk_i32 s4, 0x25c
	v_mov_b32_e32 v9, v10
	v_cmp_lt_u32_e64 s[4:5], s4, v0
	v_lshl_add_u64 v[8:9], v[8:9], 3, s[22:23]
	v_mov_b32_e32 v10, 0x34f
	v_cndmask_b32_e64 v6, 0, v1, s[4:5]
	v_lshl_add_u64 v[8:9], v[6:7], 3, v[8:9]
	v_mov_b32_e32 v6, 0xfffffe1c
	v_cndmask_b32_e64 v32, v6, v10, s[6:7]
	v_add_u32_e32 v20, v32, v0
	v_mad_u64_u32 v[10:11], s[6:7], s28, v20, 0
	v_mov_b32_e32 v6, v11
	v_mad_u64_u32 v[20:21], s[6:7], s29, v20, v[6:7]
	s_movk_i32 s6, 0x1e3
	v_mov_b32_e32 v11, v20
	v_cmp_lt_u32_e64 s[6:7], s6, v0
	v_lshl_add_u64 v[10:11], v[10:11], 3, s[22:23]
	v_cndmask_b32_e64 v36, 0, 1, s[4:5]
	v_cndmask_b32_e64 v6, 0, v1, s[6:7]
	v_lshl_add_u64 v[10:11], v[6:7], 3, v[10:11]
	global_load_dwordx2 v[20:21], v[2:3], off
	global_load_dwordx2 v[22:23], v[4:5], off
	;; [unrolled: 1-line block ×4, first 2 shown]
	v_mov_b32_e32 v2, 0xfffffe95
	v_mov_b32_e32 v3, 0x3c8
	v_cndmask_b32_e64 v33, v2, v3, s[8:9]
	v_add_u32_e32 v5, v33, v0
	v_mad_u64_u32 v[2:3], s[8:9], s28, v5, 0
	v_mov_b32_e32 v4, v3
	v_mad_u64_u32 v[4:5], s[8:9], s29, v5, v[4:5]
	v_mov_b32_e32 v3, v4
	v_mov_b32_e32 v4, 0xffffff0e
	;; [unrolled: 1-line block ×3, first 2 shown]
	s_movk_i32 s8, 0x16a
	v_cndmask_b32_e64 v34, v4, v5, s[10:11]
	v_cmp_lt_u32_e64 s[8:9], s8, v0
	v_add_u32_e32 v8, v34, v0
	v_lshl_add_u64 v[2:3], v[2:3], 3, s[22:23]
	v_cndmask_b32_e64 v6, 0, v1, s[8:9]
	v_mad_u64_u32 v[4:5], s[10:11], s28, v8, 0
	v_lshl_add_u64 v[2:3], v[6:7], 3, v[2:3]
	v_mov_b32_e32 v6, v5
	v_mad_u64_u32 v[8:9], s[10:11], s29, v8, v[6:7]
	s_movk_i32 s10, 0xf1
	v_mov_b32_e32 v5, v8
	v_cmp_lt_u32_e64 s[10:11], s10, v0
	v_lshl_add_u64 v[4:5], v[4:5], 3, s[22:23]
	v_mov_b32_e32 v8, 0x4ba
	v_cndmask_b32_e64 v6, 0, v1, s[10:11]
	v_lshl_add_u64 v[4:5], v[6:7], 3, v[4:5]
	v_mov_b32_e32 v6, 0xffffff87
	v_cndmask_b32_e64 v35, v6, v8, s[12:13]
	v_add_u32_e32 v10, v35, v0
	v_mad_u64_u32 v[8:9], s[12:13], s28, v10, 0
	v_mov_b32_e32 v6, v9
	v_mad_u64_u32 v[10:11], s[12:13], s29, v10, v[6:7]
	global_load_dwordx2 v[2:3], v[2:3], off
	s_movk_i32 s12, 0x78
	global_load_dwordx2 v[4:5], v[4:5], off
	v_mov_b32_e32 v9, v10
	v_cmp_lt_u32_e64 s[12:13], s12, v0
	v_lshl_add_u64 v[8:9], v[8:9], 3, s[22:23]
	v_cndmask_b32_e64 v10, 0, 1, s[0:1]
	v_cndmask_b32_e64 v6, 0, v1, s[12:13]
	v_lshl_add_u64 v[8:9], v[6:7], 3, v[8:9]
	global_load_dwordx2 v[8:9], v[8:9], off
	v_cndmask_b32_e64 v6, 0, 1, vcc
	v_lshl_add_u32 v1, v0, 3, 0
	s_waitcnt vmcnt(9)
	ds_write2_b64 v1, v[12:13], v[14:15] offset1:121
	s_waitcnt vmcnt(8)
	ds_write_b64 v1, v[16:17] offset:1936
	v_lshlrev_b32_e32 v12, 3, v28
	v_lshlrev_b32_e32 v6, 3, v6
	v_add3_u32 v6, v1, v12, v6
	s_waitcnt vmcnt(7)
	ds_write_b64 v6, v[18:19]
	v_lshlrev_b32_e32 v6, 3, v29
	v_lshlrev_b32_e32 v10, 3, v10
	v_cndmask_b32_e64 v11, 0, 1, s[2:3]
	v_add3_u32 v6, v1, v6, v10
	v_lshlrev_b32_e32 v10, 3, v11
	v_cndmask_b32_e64 v37, 0, 1, s[6:7]
	v_cndmask_b32_e64 v38, 0, 1, s[8:9]
	;; [unrolled: 1-line block ×4, first 2 shown]
	s_mov_b32 s4, 0xbf0a6770
	s_mov_b32 s5, 0x3f575c64
	;; [unrolled: 1-line block ×8, first 2 shown]
	s_movk_i32 s0, 0x58
	s_mov_b32 s2, 0xbf4178ce
	s_mov_b32 s3, 0xbf27a4f4
	s_waitcnt vmcnt(6)
	ds_write_b64 v6, v[20:21]
	v_lshlrev_b32_e32 v6, 3, v30
	v_add3_u32 v6, v1, v6, v10
	s_waitcnt vmcnt(5)
	ds_write_b64 v6, v[22:23]
	v_lshlrev_b32_e32 v6, 3, v31
	v_lshlrev_b32_e32 v10, 3, v36
	v_add3_u32 v6, v1, v6, v10
	s_waitcnt vmcnt(4)
	ds_write_b64 v6, v[24:25]
	v_lshlrev_b32_e32 v6, 3, v32
	;; [unrolled: 5-line block ×3, first 2 shown]
	v_lshlrev_b32_e32 v10, 3, v38
	v_add3_u32 v6, v1, v6, v10
	v_add_u32_e32 v36, 0xc00, v1
	v_add_u32_e32 v37, 0x1400, v1
	v_add_u32_e32 v38, 0x1c00, v1
	s_mov_b32 s36, s3
	s_mov_b32 s37, s2
	s_mov_b32 s6, 0xbe903f40
	s_mov_b32 s7, 0xbf75a155
	s_mov_b32 s38, s7
	s_mov_b32 s39, s6
	s_mov_b32 s28, 0x3e903f40
	s_mov_b32 s48, s7
	s_mov_b32 s49, s28
	s_mov_b32 s29, s7
	s_mov_b32 s12, 0x3f7d64f0
	s_mov_b32 s47, s12
	s_mov_b32 s8, 0x3f0a6770
	s_mov_b32 s42, s5
	s_mov_b32 s43, s8
	s_mov_b32 s9, s5
	s_mov_b32 s10, 0x3f68dda4
	s_mov_b32 s44, s23
	s_mov_b32 s45, s10
	s_mov_b32 s11, s23
	s_mul_i32 s26, s20, s26
	s_mul_i32 s20, s24, s50
	s_lshl_b64 s[20:21], s[20:21], 3
	s_mul_i32 s18, s18, s33
	s_waitcnt vmcnt(2)
	ds_write_b64 v6, v[2:3]
	v_lshlrev_b32_e32 v2, 3, v34
	v_lshlrev_b32_e32 v3, 3, v39
	v_add3_u32 v2, v1, v2, v3
	s_waitcnt vmcnt(1)
	ds_write_b64 v2, v[4:5]
	v_lshlrev_b32_e32 v2, 3, v35
	v_lshlrev_b32_e32 v3, 3, v40
	v_add3_u32 v2, v1, v2, v3
	v_add_u32_e32 v6, 0x400, v1
	s_waitcnt vmcnt(0)
	ds_write_b64 v2, v[8:9]
	s_waitcnt lgkmcnt(0)
	s_barrier
	ds_read2_b64 v[2:5], v1 offset1:121
	ds_read2_b64 v[8:11], v6 offset0:114 offset1:235
	ds_read2_b64 v[12:15], v36 offset0:100 offset1:221
	;; [unrolled: 1-line block ×4, first 2 shown]
	ds_read_b64 v[24:25], v1 offset:9680
	s_waitcnt lgkmcnt(5)
	v_pk_add_f32 v[26:27], v[2:3], v[4:5]
	v_mad_u32_u24 v39, v0, s0, 0
	s_waitcnt lgkmcnt(4)
	v_pk_add_f32 v[26:27], v[26:27], v[8:9]
	s_waitcnt lgkmcnt(1)
	v_pk_add_f32 v[46:47], v[20:21], v[10:11]
	v_pk_add_f32 v[26:27], v[26:27], v[10:11]
	s_waitcnt lgkmcnt(0)
	v_pk_add_f32 v[42:43], v[24:25], v[4:5]
	v_pk_add_f32 v[26:27], v[26:27], v[12:13]
	;; [unrolled: 1-line block ×8, first 2 shown]
	v_pk_add_f32 v[32:33], v[14:15], v[16:17] neg_lo:[0,1] neg_hi:[0,1]
	v_pk_add_f32 v[26:27], v[26:27], v[20:21]
	v_pk_add_f32 v[20:21], v[10:11], v[20:21] neg_lo:[0,1] neg_hi:[0,1]
	v_pk_add_f32 v[26:27], v[26:27], v[22:23]
	;; [unrolled: 2-line block ×3, first 2 shown]
	v_pk_add_f32 v[24:25], v[4:5], v[24:25] neg_lo:[0,1] neg_hi:[0,1]
	v_mov_b32_e32 v5, v43
	v_mov_b32_e32 v43, v24
	;; [unrolled: 1-line block ×3, first 2 shown]
	v_pk_mul_f32 v[10:11], v[42:43], s[34:35]
	v_pk_add_f32 v[26:27], v[12:13], v[18:19] neg_lo:[0,1] neg_hi:[0,1]
	v_pk_fma_f32 v[12:13], v[4:5], s[4:5], v[10:11] neg_lo:[1,0,0] neg_hi:[1,0,0]
	v_pk_fma_f32 v[8:9], v[4:5], s[4:5], v[10:11]
	s_mov_b32 s0, 0xbf7d64f0
	v_mov_b32_e32 v13, v9
	v_pk_add_f32 v[18:19], v[2:3], v[12:13]
	v_mov_b32_e32 v13, v45
	v_mov_b32_e32 v45, v22
	;; [unrolled: 1-line block ×3, first 2 shown]
	v_pk_mul_f32 v[16:17], v[44:45], s[40:41]
	s_mov_b32 s1, 0xbe11bafb
	v_pk_fma_f32 v[22:23], v[12:13], s[22:23], v[16:17] neg_lo:[1,0,0] neg_hi:[1,0,0]
	v_pk_fma_f32 v[14:15], v[12:13], s[22:23], v[16:17]
	s_mov_b32 s30, s1
	v_mov_b32_e32 v23, v15
	v_pk_add_f32 v[24:25], v[22:23], v[18:19]
	v_mov_b32_e32 v19, v47
	v_mov_b32_e32 v47, v20
	s_mov_b32 s31, s0
	v_mov_b32_e32 v18, v21
	v_pk_mul_f32 v[22:23], v[46:47], s[30:31]
	s_nop 0
	v_pk_fma_f32 v[28:29], v[18:19], s[0:1], v[22:23] neg_lo:[1,0,0] neg_hi:[1,0,0]
	v_pk_fma_f32 v[20:21], v[18:19], s[0:1], v[22:23]
	s_barrier
	v_mov_b32_e32 v29, v21
	v_pk_add_f32 v[30:31], v[28:29], v[24:25]
	v_mov_b32_e32 v25, v49
	v_mov_b32_e32 v49, v26
	v_mov_b32_e32 v24, v27
	v_pk_mul_f32 v[28:29], v[48:49], s[36:37]
	s_nop 0
	v_pk_fma_f32 v[34:35], v[24:25], s[2:3], v[28:29] neg_lo:[1,0,0] neg_hi:[1,0,0]
	v_pk_fma_f32 v[26:27], v[24:25], s[2:3], v[28:29]
	v_pk_mul_f32 v[56:57], v[44:45], s[36:37]
	v_mov_b32_e32 v35, v27
	v_pk_add_f32 v[52:53], v[34:35], v[30:31]
	v_mov_b32_e32 v31, v51
	v_mov_b32_e32 v51, v32
	;; [unrolled: 1-line block ×3, first 2 shown]
	v_pk_mul_f32 v[34:35], v[50:51], s[38:39]
	v_pk_fma_f32 v[58:59], v[12:13], s[2:3], v[56:57] neg_lo:[1,0,0] neg_hi:[1,0,0]
	v_pk_fma_f32 v[54:55], v[30:31], s[6:7], v[34:35] neg_lo:[1,0,0] neg_hi:[1,0,0]
	v_pk_fma_f32 v[32:33], v[30:31], s[6:7], v[34:35]
	v_pk_fma_f32 v[60:61], v[12:13], s[2:3], v[56:57]
	v_mov_b32_e32 v55, v33
	v_pk_add_f32 v[52:53], v[54:55], v[52:53]
	ds_write2_b64 v39, v[40:41], v[52:53] offset1:1
	v_pk_mul_f32 v[40:41], v[42:43], s[40:41]
	v_mov_b32_e32 v59, v61
	v_pk_fma_f32 v[52:53], v[4:5], s[22:23], v[40:41] neg_lo:[1,0,0] neg_hi:[1,0,0]
	v_pk_fma_f32 v[54:55], v[4:5], s[22:23], v[40:41]
	s_mov_b32 s46, s1
	v_mov_b32_e32 v53, v55
	v_pk_add_f32 v[52:53], v[2:3], v[52:53]
	s_mov_b32 s13, s1
	v_pk_add_f32 v[52:53], v[58:59], v[52:53]
	v_pk_mul_f32 v[58:59], v[46:47], s[48:49]
	v_pk_mul_f32 v[78:79], v[44:45], s[48:49]
	v_pk_fma_f32 v[62:63], v[18:19], s[28:29], v[58:59] neg_lo:[1,0,0] neg_hi:[1,0,0]
	v_pk_fma_f32 v[64:65], v[18:19], s[28:29], v[58:59]
	v_pk_fma_f32 v[80:81], v[12:13], s[28:29], v[78:79] neg_lo:[1,0,0] neg_hi:[1,0,0]
	v_mov_b32_e32 v63, v65
	v_pk_add_f32 v[52:53], v[62:63], v[52:53]
	v_pk_mul_f32 v[62:63], v[48:49], s[46:47]
	v_pk_fma_f32 v[82:83], v[12:13], s[28:29], v[78:79]
	v_pk_fma_f32 v[66:67], v[24:25], s[12:13], v[62:63] neg_lo:[1,0,0] neg_hi:[1,0,0]
	v_pk_fma_f32 v[68:69], v[24:25], s[12:13], v[62:63]
	v_mov_b32_e32 v81, v83
	v_mov_b32_e32 v67, v69
	v_pk_add_f32 v[52:53], v[66:67], v[52:53]
	v_pk_mul_f32 v[66:67], v[50:51], s[42:43]
	v_pk_mul_f32 v[96:97], v[44:45], s[46:47]
	v_pk_fma_f32 v[70:71], v[30:31], s[8:9], v[66:67] neg_lo:[1,0,0] neg_hi:[1,0,0]
	v_pk_fma_f32 v[72:73], v[30:31], s[8:9], v[66:67]
	v_pk_fma_f32 v[98:99], v[12:13], s[12:13], v[96:97] neg_lo:[1,0,0] neg_hi:[1,0,0]
	v_mov_b32_e32 v71, v73
	v_pk_add_f32 v[52:53], v[70:71], v[52:53]
	v_pk_mul_f32 v[70:71], v[42:43], s[30:31]
	v_pk_fma_f32 v[100:101], v[12:13], s[12:13], v[96:97]
	v_pk_fma_f32 v[74:75], v[4:5], s[0:1], v[70:71] neg_lo:[1,0,0] neg_hi:[1,0,0]
	v_pk_fma_f32 v[76:77], v[4:5], s[0:1], v[70:71]
	v_mov_b32_e32 v99, v101
	v_mov_b32_e32 v75, v77
	v_pk_add_f32 v[74:75], v[2:3], v[74:75]
	v_pk_mul_f32 v[44:45], v[44:45], s[42:43]
	v_pk_add_f32 v[74:75], v[80:81], v[74:75]
	v_pk_mul_f32 v[80:81], v[46:47], s[44:45]
	v_pk_fma_f32 v[116:117], v[12:13], s[8:9], v[44:45] neg_lo:[1,0,0] neg_hi:[1,0,0]
	v_pk_fma_f32 v[84:85], v[18:19], s[10:11], v[80:81] neg_lo:[1,0,0] neg_hi:[1,0,0]
	v_pk_fma_f32 v[86:87], v[18:19], s[10:11], v[80:81]
	v_pk_fma_f32 v[118:119], v[12:13], s[8:9], v[44:45]
	v_mov_b32_e32 v85, v87
	v_pk_add_f32 v[74:75], v[84:85], v[74:75]
	v_pk_mul_f32 v[84:85], v[48:49], s[34:35]
	v_mov_b32_e32 v117, v119
	v_pk_fma_f32 v[88:89], v[24:25], s[4:5], v[84:85] neg_lo:[1,0,0] neg_hi:[1,0,0]
	v_pk_fma_f32 v[90:91], v[24:25], s[4:5], v[84:85]
	v_pk_fma_f32 v[40:41], v[4:5], s[22:23], v[40:41] neg_lo:[0,0,1] neg_hi:[0,0,1]
	v_mov_b32_e32 v89, v91
	v_pk_add_f32 v[74:75], v[88:89], v[74:75]
	v_pk_mul_f32 v[88:89], v[50:51], s[36:37]
	v_mov_b32_e32 v55, v41
	v_pk_fma_f32 v[92:93], v[30:31], s[2:3], v[88:89] neg_lo:[1,0,0] neg_hi:[1,0,0]
	v_pk_fma_f32 v[94:95], v[30:31], s[2:3], v[88:89]
	v_pk_fma_f32 v[40:41], v[12:13], s[2:3], v[56:57] neg_lo:[0,0,1] neg_hi:[0,0,1]
	v_mov_b32_e32 v93, v95
	v_pk_add_f32 v[74:75], v[92:93], v[74:75]
	ds_write2_b64 v39, v[52:53], v[74:75] offset0:2 offset1:3
	v_pk_mul_f32 v[52:53], v[42:43], s[36:37]
	v_pk_mul_f32 v[42:43], v[42:43], s[38:39]
	v_pk_fma_f32 v[74:75], v[4:5], s[2:3], v[52:53] neg_lo:[1,0,0] neg_hi:[1,0,0]
	v_pk_fma_f32 v[92:93], v[4:5], s[2:3], v[52:53]
	v_pk_fma_f32 v[114:115], v[4:5], s[6:7], v[42:43]
	v_mov_b32_e32 v75, v93
	v_pk_add_f32 v[74:75], v[2:3], v[74:75]
	v_mov_b32_e32 v61, v41
	v_pk_add_f32 v[74:75], v[98:99], v[74:75]
	v_pk_mul_f32 v[98:99], v[46:47], s[34:35]
	v_pk_mul_f32 v[46:47], v[46:47], s[36:37]
	v_pk_fma_f32 v[102:103], v[18:19], s[4:5], v[98:99] neg_lo:[1,0,0] neg_hi:[1,0,0]
	v_pk_fma_f32 v[104:105], v[18:19], s[4:5], v[98:99]
	v_pk_fma_f32 v[120:121], v[18:19], s[2:3], v[46:47]
	v_mov_b32_e32 v103, v105
	v_pk_add_f32 v[74:75], v[102:103], v[74:75]
	v_pk_mul_f32 v[102:103], v[48:49], s[38:39]
	v_pk_mul_f32 v[48:49], v[48:49], s[44:45]
	v_pk_fma_f32 v[106:107], v[24:25], s[6:7], v[102:103] neg_lo:[1,0,0] neg_hi:[1,0,0]
	v_pk_fma_f32 v[108:109], v[24:25], s[6:7], v[102:103]
	v_pk_fma_f32 v[122:123], v[24:25], s[10:11], v[48:49]
	;; [unrolled: 7-line block ×3, first 2 shown]
	v_mov_b32_e32 v111, v113
	v_pk_add_f32 v[74:75], v[110:111], v[74:75]
	v_pk_fma_f32 v[110:111], v[4:5], s[6:7], v[42:43] neg_lo:[1,0,0] neg_hi:[1,0,0]
	v_pk_fma_f32 v[42:43], v[4:5], s[6:7], v[42:43] neg_lo:[0,0,1] neg_hi:[0,0,1]
	v_mov_b32_e32 v111, v115
	v_pk_add_f32 v[110:111], v[2:3], v[110:111]
	v_mov_b32_e32 v115, v43
	v_pk_add_f32 v[110:111], v[116:117], v[110:111]
	v_pk_fma_f32 v[116:117], v[18:19], s[2:3], v[46:47] neg_lo:[1,0,0] neg_hi:[1,0,0]
	v_pk_fma_f32 v[42:43], v[12:13], s[8:9], v[44:45] neg_lo:[0,0,1] neg_hi:[0,0,1]
	v_mov_b32_e32 v117, v121
	v_pk_add_f32 v[110:111], v[116:117], v[110:111]
	v_pk_fma_f32 v[116:117], v[24:25], s[10:11], v[48:49] neg_lo:[1,0,0] neg_hi:[1,0,0]
	v_pk_fma_f32 v[44:45], v[18:19], s[2:3], v[46:47] neg_lo:[0,0,1] neg_hi:[0,0,1]
	v_mov_b32_e32 v117, v123
	v_mov_b32_e32 v121, v45
	v_pk_fma_f32 v[44:45], v[24:25], s[10:11], v[48:49] neg_lo:[0,0,1] neg_hi:[0,0,1]
	v_pk_add_f32 v[110:111], v[116:117], v[110:111]
	v_pk_fma_f32 v[116:117], v[30:31], s[0:1], v[50:51] neg_lo:[1,0,0] neg_hi:[1,0,0]
	v_mov_b32_e32 v123, v45
	v_pk_fma_f32 v[44:45], v[30:31], s[0:1], v[50:51] neg_lo:[0,0,1] neg_hi:[0,0,1]
	v_mov_b32_e32 v117, v125
	v_mov_b32_e32 v125, v45
	v_pk_fma_f32 v[44:45], v[4:5], s[2:3], v[52:53] neg_lo:[0,0,1] neg_hi:[0,0,1]
	v_mov_b32_e32 v119, v43
	v_mov_b32_e32 v93, v45
	v_pk_fma_f32 v[44:45], v[12:13], s[12:13], v[96:97] neg_lo:[0,0,1] neg_hi:[0,0,1]
	v_pk_add_f32 v[42:43], v[2:3], v[114:115]
	v_mov_b32_e32 v101, v45
	v_pk_add_f32 v[44:45], v[2:3], v[92:93]
	v_pk_fma_f32 v[46:47], v[18:19], s[4:5], v[98:99] neg_lo:[0,0,1] neg_hi:[0,0,1]
	v_pk_add_f32 v[42:43], v[118:119], v[42:43]
	v_pk_add_f32 v[44:45], v[100:101], v[44:45]
	v_mov_b32_e32 v105, v47
	v_pk_fma_f32 v[46:47], v[24:25], s[6:7], v[102:103] neg_lo:[0,0,1] neg_hi:[0,0,1]
	v_pk_add_f32 v[42:43], v[120:121], v[42:43]
	v_pk_add_f32 v[44:45], v[104:105], v[44:45]
	v_mov_b32_e32 v109, v47
	;; [unrolled: 4-line block ×3, first 2 shown]
	v_pk_add_f32 v[42:43], v[124:125], v[42:43]
	v_pk_add_f32 v[44:45], v[112:113], v[44:45]
	ds_write2_b64 v39, v[42:43], v[44:45] offset0:6 offset1:7
	v_pk_fma_f32 v[44:45], v[18:19], s[10:11], v[80:81] neg_lo:[0,0,1] neg_hi:[0,0,1]
	v_pk_fma_f32 v[42:43], v[4:5], s[0:1], v[70:71] neg_lo:[0,0,1] neg_hi:[0,0,1]
	v_mov_b32_e32 v87, v45
	v_pk_fma_f32 v[44:45], v[24:25], s[4:5], v[84:85] neg_lo:[0,0,1] neg_hi:[0,0,1]
	v_pk_fma_f32 v[4:5], v[4:5], s[4:5], v[10:11] neg_lo:[0,0,1] neg_hi:[0,0,1]
	v_mov_b32_e32 v77, v43
	v_pk_fma_f32 v[42:43], v[12:13], s[28:29], v[78:79] neg_lo:[0,0,1] neg_hi:[0,0,1]
	v_mov_b32_e32 v91, v45
	;; [unrolled: 2-line block ×4, first 2 shown]
	v_pk_add_f32 v[42:43], v[2:3], v[76:77]
	v_mov_b32_e32 v95, v45
	v_pk_add_f32 v[40:41], v[2:3], v[54:55]
	v_pk_fma_f32 v[44:45], v[18:19], s[28:29], v[58:59] neg_lo:[0,0,1] neg_hi:[0,0,1]
	v_pk_add_f32 v[2:3], v[2:3], v[8:9]
	v_mov_b32_e32 v15, v5
	v_pk_fma_f32 v[4:5], v[18:19], s[0:1], v[22:23] neg_lo:[0,0,1] neg_hi:[0,0,1]
	v_pk_add_f32 v[42:43], v[82:83], v[42:43]
	v_pk_add_f32 v[40:41], v[60:61], v[40:41]
	v_mov_b32_e32 v65, v45
	v_pk_fma_f32 v[44:45], v[24:25], s[12:13], v[62:63] neg_lo:[0,0,1] neg_hi:[0,0,1]
	v_pk_add_f32 v[2:3], v[14:15], v[2:3]
	v_mov_b32_e32 v21, v5
	v_pk_fma_f32 v[4:5], v[24:25], s[2:3], v[28:29] neg_lo:[0,0,1] neg_hi:[0,0,1]
	v_pk_add_f32 v[42:43], v[86:87], v[42:43]
	v_pk_add_f32 v[40:41], v[64:65], v[40:41]
	v_mov_b32_e32 v69, v45
	;; [unrolled: 7-line block ×3, first 2 shown]
	v_pk_add_f32 v[2:3], v[26:27], v[2:3]
	v_mov_b32_e32 v33, v5
	v_pk_add_f32 v[110:111], v[116:117], v[110:111]
	v_pk_add_f32 v[42:43], v[94:95], v[42:43]
	;; [unrolled: 1-line block ×4, first 2 shown]
	ds_write2_b64 v39, v[74:75], v[110:111] offset0:4 offset1:5
	ds_write2_b64 v39, v[42:43], v[40:41] offset0:8 offset1:9
	ds_write_b64 v39, v[2:3] offset:80
	v_mul_u32_u24_e32 v39, 0x1746, v0
	v_mov_b32_e32 v2, 11
	v_mul_lo_u16_sdwa v2, v39, v2 dst_sel:DWORD dst_unused:UNUSED_PAD src0_sel:WORD_1 src1_sel:DWORD
	v_sub_u16_e32 v40, v0, v2
	v_mul_u32_u24_e32 v2, 10, v40
	v_lshlrev_b32_e32 v2, 3, v2
	s_waitcnt lgkmcnt(0)
	s_barrier
	global_load_dwordx4 v[8:11], v2, s[16:17]
	global_load_dwordx4 v[12:15], v2, s[16:17] offset:16
	global_load_dwordx4 v[16:19], v2, s[16:17] offset:32
	;; [unrolled: 1-line block ×4, first 2 shown]
	ds_read2_b64 v[2:5], v1 offset1:121
	ds_read2_b64 v[28:31], v6 offset0:114 offset1:235
	ds_read2_b64 v[32:35], v36 offset0:100 offset1:221
	s_waitcnt vmcnt(4) lgkmcnt(2)
	v_mul_f32_e32 v41, v9, v5
	v_mul_f32_e32 v49, v9, v4
	v_fma_f32 v48, v8, v4, -v41
	v_fmac_f32_e32 v49, v8, v5
	v_mov_b32_e32 v8, v11
	v_mov_b32_e32 v9, v10
	s_waitcnt lgkmcnt(1)
	v_pk_mul_f32 v[8:9], v[8:9], v[28:29] op_sel:[0,1]
	v_mul_u32_u24_sdwa v4, v39, s52 dst_sel:DWORD dst_unused:UNUSED_PAD src0_sel:WORD_1 src1_sel:DWORD
	v_pk_fma_f32 v[50:51], v[10:11], v[28:29], v[8:9] neg_lo:[0,0,1] neg_hi:[0,0,1]
	v_pk_fma_f32 v[8:9], v[10:11], v[28:29], v[8:9] op_sel_hi:[1,0,1]
	v_lshlrev_b32_e32 v5, 3, v40
	v_mov_b32_e32 v51, v9
	s_waitcnt vmcnt(3)
	v_pk_mul_f32 v[8:9], v[12:13], v[30:31] op_sel:[0,1]
	v_add3_u32 v39, 0, v4, v5
	v_pk_fma_f32 v[10:11], v[12:13], v[30:31], v[8:9] op_sel:[0,0,1] op_sel_hi:[1,1,0] neg_lo:[0,0,1] neg_hi:[0,0,1]
	v_pk_fma_f32 v[8:9], v[12:13], v[30:31], v[8:9] op_sel:[0,0,1] op_sel_hi:[1,0,0]
	ds_read2_b64 v[40:43], v37 offset0:86 offset1:207
	ds_read2_b64 v[44:47], v38 offset0:72 offset1:193
	ds_read_b64 v[4:5], v1 offset:9680
	v_mov_b32_e32 v11, v9
	s_waitcnt lgkmcnt(3)
	v_pk_mul_f32 v[8:9], v[14:15], v[32:33] op_sel:[0,1]
	s_waitcnt lgkmcnt(0)
	v_pk_fma_f32 v[12:13], v[14:15], v[32:33], v[8:9] op_sel:[0,0,1] op_sel_hi:[1,1,0] neg_lo:[0,0,1] neg_hi:[0,0,1]
	v_pk_fma_f32 v[8:9], v[14:15], v[32:33], v[8:9] op_sel:[0,0,1] op_sel_hi:[1,0,0]
	s_barrier
	v_mov_b32_e32 v13, v9
	s_waitcnt vmcnt(2)
	v_pk_mul_f32 v[8:9], v[16:17], v[34:35] op_sel:[0,1]
	s_nop 0
	v_pk_fma_f32 v[14:15], v[16:17], v[34:35], v[8:9] op_sel:[0,0,1] op_sel_hi:[1,1,0] neg_lo:[0,0,1] neg_hi:[0,0,1]
	v_pk_fma_f32 v[8:9], v[16:17], v[34:35], v[8:9] op_sel:[0,0,1] op_sel_hi:[1,0,0]
	s_nop 0
	v_mov_b32_e32 v8, v19
	v_mov_b32_e32 v15, v9
	v_pk_mul_f32 v[8:9], v[40:41], v[8:9] op_sel_hi:[1,0]
	s_nop 0
	v_pk_fma_f32 v[16:17], v[40:41], v[18:19], v[8:9] op_sel:[0,0,1] op_sel_hi:[1,1,0] neg_lo:[0,0,1] neg_hi:[0,0,1]
	v_pk_fma_f32 v[8:9], v[40:41], v[18:19], v[8:9] op_sel:[0,0,1] op_sel_hi:[1,0,0]
	s_nop 0
	v_mov_b32_e32 v17, v9
	s_waitcnt vmcnt(1)
	v_pk_mul_f32 v[8:9], v[42:43], v[20:21] op_sel:[0,1]
	s_nop 0
	v_pk_fma_f32 v[18:19], v[42:43], v[20:21], v[8:9] op_sel:[0,0,1] op_sel_hi:[1,1,0] neg_lo:[0,0,1] neg_hi:[0,0,1]
	v_pk_fma_f32 v[8:9], v[42:43], v[20:21], v[8:9] op_sel:[0,0,1] op_sel_hi:[1,0,0]
	s_nop 0
	v_mov_b32_e32 v8, v23
	v_mov_b32_e32 v19, v9
	v_pk_mul_f32 v[8:9], v[44:45], v[8:9] op_sel_hi:[1,0]
	s_nop 0
	v_pk_fma_f32 v[20:21], v[44:45], v[22:23], v[8:9] op_sel:[0,0,1] op_sel_hi:[1,1,0] neg_lo:[0,0,1] neg_hi:[0,0,1]
	v_pk_fma_f32 v[8:9], v[44:45], v[22:23], v[8:9] op_sel:[0,0,1] op_sel_hi:[1,0,0]
	s_nop 0
	v_mov_b32_e32 v21, v9
	s_waitcnt vmcnt(0)
	v_pk_mul_f32 v[8:9], v[46:47], v[24:25] op_sel:[0,1]
	s_nop 0
	v_pk_fma_f32 v[22:23], v[46:47], v[24:25], v[8:9] op_sel:[0,0,1] op_sel_hi:[1,1,0] neg_lo:[0,0,1] neg_hi:[0,0,1]
	v_pk_fma_f32 v[8:9], v[46:47], v[24:25], v[8:9] op_sel:[0,0,1] op_sel_hi:[1,0,0]
	s_nop 0
	v_mov_b32_e32 v8, v27
	v_mov_b32_e32 v23, v9
	v_pk_mul_f32 v[8:9], v[4:5], v[8:9] op_sel_hi:[1,0]
	s_nop 0
	v_pk_fma_f32 v[24:25], v[4:5], v[26:27], v[8:9] op_sel:[0,0,1] op_sel_hi:[1,0,0] neg_lo:[0,0,1] neg_hi:[0,0,1]
	v_pk_fma_f32 v[8:9], v[4:5], v[26:27], v[8:9] op_sel:[0,0,1] op_sel_hi:[1,0,0]
	v_pk_add_f32 v[4:5], v[48:49], v[2:3]
	v_mov_b32_e32 v25, v9
	v_pk_add_f32 v[4:5], v[4:5], v[50:51]
	v_add_f32_e32 v28, v48, v24
	v_pk_add_f32 v[4:5], v[4:5], v[10:11]
	v_sub_f32_e32 v29, v48, v24
	v_pk_add_f32 v[4:5], v[4:5], v[12:13]
	s_nop 0
	v_pk_add_f32 v[4:5], v[4:5], v[14:15]
	s_nop 0
	;; [unrolled: 2-line block ×6, first 2 shown]
	v_pk_add_f32 v[26:27], v[4:5], v[24:25]
	v_add_f32_e32 v5, v49, v9
	v_sub_f32_e32 v4, v49, v9
	v_pk_add_f32 v[8:9], v[50:51], v[22:23]
	v_pk_add_f32 v[22:23], v[50:51], v[22:23] neg_lo:[0,1] neg_hi:[0,1]
	v_pk_add_f32 v[24:25], v[10:11], v[20:21]
	v_pk_add_f32 v[10:11], v[10:11], v[20:21] neg_lo:[0,1] neg_hi:[0,1]
	;; [unrolled: 2-line block ×4, first 2 shown]
	v_pk_mul_f32 v[16:17], v[28:29], s[34:35]
	v_mov_b32_e32 v35, v9
	v_mov_b32_e32 v9, v22
	v_pk_fma_f32 v[30:31], v[4:5], s[4:5], v[16:17] neg_lo:[1,0,0] neg_hi:[1,0,0]
	v_pk_fma_f32 v[32:33], v[4:5], s[4:5], v[16:17]
	v_mov_b32_e32 v34, v23
	v_pk_mul_f32 v[22:23], v[8:9], s[40:41]
	v_mov_b32_e32 v31, v33
	v_pk_fma_f32 v[40:41], v[34:35], s[22:23], v[22:23] neg_lo:[1,0,0] neg_hi:[1,0,0]
	v_pk_fma_f32 v[42:43], v[34:35], s[22:23], v[22:23]
	v_pk_add_f32 v[30:31], v[30:31], v[2:3]
	v_mov_b32_e32 v41, v43
	v_pk_add_f32 v[30:31], v[40:41], v[30:31]
	v_mov_b32_e32 v41, v25
	v_mov_b32_e32 v25, v10
	;; [unrolled: 1-line block ×3, first 2 shown]
	v_pk_mul_f32 v[10:11], v[24:25], s[30:31]
	v_pk_mul_f32 v[56:57], v[8:9], s[36:37]
	v_pk_fma_f32 v[44:45], v[40:41], s[0:1], v[10:11] neg_lo:[1,0,0] neg_hi:[1,0,0]
	v_pk_fma_f32 v[46:47], v[40:41], s[0:1], v[10:11]
	v_pk_fma_f32 v[58:59], v[34:35], s[2:3], v[56:57] neg_lo:[1,0,0] neg_hi:[1,0,0]
	v_mov_b32_e32 v45, v47
	v_pk_add_f32 v[30:31], v[44:45], v[30:31]
	v_mov_b32_e32 v45, v21
	v_mov_b32_e32 v21, v12
	;; [unrolled: 1-line block ×3, first 2 shown]
	v_pk_mul_f32 v[12:13], v[20:21], s[36:37]
	v_pk_fma_f32 v[60:61], v[34:35], s[2:3], v[56:57]
	v_pk_fma_f32 v[48:49], v[44:45], s[2:3], v[12:13] neg_lo:[1,0,0] neg_hi:[1,0,0]
	v_pk_fma_f32 v[50:51], v[44:45], s[2:3], v[12:13]
	v_mov_b32_e32 v59, v61
	v_mov_b32_e32 v49, v51
	v_pk_add_f32 v[30:31], v[48:49], v[30:31]
	v_mov_b32_e32 v49, v19
	v_mov_b32_e32 v19, v14
	;; [unrolled: 1-line block ×3, first 2 shown]
	v_pk_mul_f32 v[14:15], v[18:19], s[38:39]
	v_pk_mul_f32 v[78:79], v[8:9], s[48:49]
	v_pk_fma_f32 v[52:53], v[48:49], s[6:7], v[14:15] neg_lo:[1,0,0] neg_hi:[1,0,0]
	v_pk_fma_f32 v[54:55], v[48:49], s[6:7], v[14:15]
	v_pk_fma_f32 v[80:81], v[34:35], s[28:29], v[78:79] neg_lo:[1,0,0] neg_hi:[1,0,0]
	v_mov_b32_e32 v53, v55
	v_pk_add_f32 v[30:31], v[52:53], v[30:31]
	ds_write2_b64 v39, v[26:27], v[30:31] offset1:11
	v_pk_mul_f32 v[26:27], v[28:29], s[40:41]
	v_pk_fma_f32 v[82:83], v[34:35], s[28:29], v[78:79]
	v_pk_fma_f32 v[30:31], v[4:5], s[22:23], v[26:27] neg_lo:[1,0,0] neg_hi:[1,0,0]
	v_pk_fma_f32 v[52:53], v[4:5], s[22:23], v[26:27]
	v_mov_b32_e32 v81, v83
	v_mov_b32_e32 v31, v53
	v_pk_add_f32 v[30:31], v[30:31], v[2:3]
	v_pk_mul_f32 v[96:97], v[8:9], s[46:47]
	v_pk_add_f32 v[30:31], v[58:59], v[30:31]
	v_pk_mul_f32 v[58:59], v[24:25], s[48:49]
	v_pk_fma_f32 v[98:99], v[34:35], s[12:13], v[96:97] neg_lo:[1,0,0] neg_hi:[1,0,0]
	v_pk_fma_f32 v[62:63], v[40:41], s[28:29], v[58:59] neg_lo:[1,0,0] neg_hi:[1,0,0]
	v_pk_fma_f32 v[64:65], v[40:41], s[28:29], v[58:59]
	v_pk_fma_f32 v[100:101], v[34:35], s[12:13], v[96:97]
	v_mov_b32_e32 v63, v65
	v_pk_add_f32 v[30:31], v[62:63], v[30:31]
	v_pk_mul_f32 v[62:63], v[20:21], s[46:47]
	v_mov_b32_e32 v99, v101
	v_pk_fma_f32 v[66:67], v[44:45], s[12:13], v[62:63] neg_lo:[1,0,0] neg_hi:[1,0,0]
	v_pk_fma_f32 v[68:69], v[44:45], s[12:13], v[62:63]
	v_pk_mul_f32 v[8:9], v[8:9], s[42:43]
	v_mov_b32_e32 v67, v69
	v_pk_add_f32 v[30:31], v[66:67], v[30:31]
	v_pk_mul_f32 v[66:67], v[18:19], s[42:43]
	v_pk_fma_f32 v[116:117], v[34:35], s[8:9], v[8:9] neg_lo:[1,0,0] neg_hi:[1,0,0]
	v_pk_fma_f32 v[70:71], v[48:49], s[8:9], v[66:67] neg_lo:[1,0,0] neg_hi:[1,0,0]
	v_pk_fma_f32 v[72:73], v[48:49], s[8:9], v[66:67]
	v_pk_fma_f32 v[118:119], v[34:35], s[8:9], v[8:9]
	v_mov_b32_e32 v71, v73
	v_pk_add_f32 v[30:31], v[70:71], v[30:31]
	v_pk_mul_f32 v[70:71], v[28:29], s[30:31]
	v_mov_b32_e32 v117, v119
	v_pk_fma_f32 v[74:75], v[4:5], s[0:1], v[70:71] neg_lo:[1,0,0] neg_hi:[1,0,0]
	v_pk_fma_f32 v[76:77], v[4:5], s[0:1], v[70:71]
	v_pk_fma_f32 v[8:9], v[34:35], s[8:9], v[8:9] neg_lo:[0,0,1] neg_hi:[0,0,1]
	v_mov_b32_e32 v75, v77
	v_pk_add_f32 v[74:75], v[74:75], v[2:3]
	v_mov_b32_e32 v119, v9
	v_pk_add_f32 v[74:75], v[80:81], v[74:75]
	v_pk_mul_f32 v[80:81], v[24:25], s[44:45]
	s_nop 0
	v_pk_fma_f32 v[84:85], v[40:41], s[10:11], v[80:81] neg_lo:[1,0,0] neg_hi:[1,0,0]
	v_pk_fma_f32 v[86:87], v[40:41], s[10:11], v[80:81]
	s_nop 0
	v_mov_b32_e32 v85, v87
	v_pk_add_f32 v[74:75], v[84:85], v[74:75]
	v_pk_mul_f32 v[84:85], v[20:21], s[34:35]
	s_nop 0
	v_pk_fma_f32 v[88:89], v[44:45], s[4:5], v[84:85] neg_lo:[1,0,0] neg_hi:[1,0,0]
	v_pk_fma_f32 v[90:91], v[44:45], s[4:5], v[84:85]
	s_nop 0
	;; [unrolled: 7-line block ×3, first 2 shown]
	v_mov_b32_e32 v93, v95
	v_pk_add_f32 v[74:75], v[92:93], v[74:75]
	ds_write2_b64 v39, v[30:31], v[74:75] offset0:22 offset1:33
	v_pk_mul_f32 v[30:31], v[28:29], s[36:37]
	v_pk_mul_f32 v[28:29], v[28:29], s[38:39]
	v_pk_fma_f32 v[74:75], v[4:5], s[2:3], v[30:31] neg_lo:[1,0,0] neg_hi:[1,0,0]
	v_pk_fma_f32 v[92:93], v[4:5], s[2:3], v[30:31]
	v_pk_fma_f32 v[114:115], v[4:5], s[6:7], v[28:29]
	v_mov_b32_e32 v75, v93
	v_pk_add_f32 v[74:75], v[74:75], v[2:3]
	s_nop 0
	v_pk_add_f32 v[74:75], v[98:99], v[74:75]
	v_pk_mul_f32 v[98:99], v[24:25], s[34:35]
	v_pk_mul_f32 v[24:25], v[24:25], s[36:37]
	v_pk_fma_f32 v[102:103], v[40:41], s[4:5], v[98:99] neg_lo:[1,0,0] neg_hi:[1,0,0]
	v_pk_fma_f32 v[104:105], v[40:41], s[4:5], v[98:99]
	v_pk_fma_f32 v[120:121], v[40:41], s[2:3], v[24:25]
	v_mov_b32_e32 v103, v105
	v_pk_add_f32 v[74:75], v[102:103], v[74:75]
	v_pk_mul_f32 v[102:103], v[20:21], s[38:39]
	v_pk_mul_f32 v[20:21], v[20:21], s[44:45]
	v_pk_fma_f32 v[106:107], v[44:45], s[6:7], v[102:103] neg_lo:[1,0,0] neg_hi:[1,0,0]
	v_pk_fma_f32 v[108:109], v[44:45], s[6:7], v[102:103]
	v_pk_fma_f32 v[122:123], v[44:45], s[10:11], v[20:21]
	v_mov_b32_e32 v107, v109
	;; [unrolled: 7-line block ×3, first 2 shown]
	v_pk_add_f32 v[74:75], v[110:111], v[74:75]
	v_pk_fma_f32 v[110:111], v[4:5], s[6:7], v[28:29] neg_lo:[1,0,0] neg_hi:[1,0,0]
	v_pk_fma_f32 v[28:29], v[4:5], s[6:7], v[28:29] neg_lo:[0,0,1] neg_hi:[0,0,1]
	v_mov_b32_e32 v111, v115
	v_pk_add_f32 v[110:111], v[110:111], v[2:3]
	v_mov_b32_e32 v115, v29
	v_pk_add_f32 v[110:111], v[116:117], v[110:111]
	v_pk_fma_f32 v[116:117], v[40:41], s[2:3], v[24:25] neg_lo:[1,0,0] neg_hi:[1,0,0]
	v_pk_add_f32 v[8:9], v[114:115], v[2:3]
	v_mov_b32_e32 v117, v121
	v_pk_add_f32 v[110:111], v[116:117], v[110:111]
	v_pk_fma_f32 v[116:117], v[44:45], s[10:11], v[20:21] neg_lo:[1,0,0] neg_hi:[1,0,0]
	v_pk_fma_f32 v[20:21], v[44:45], s[10:11], v[20:21] neg_lo:[0,0,1] neg_hi:[0,0,1]
	v_mov_b32_e32 v117, v123
	v_pk_add_f32 v[110:111], v[116:117], v[110:111]
	v_pk_fma_f32 v[116:117], v[48:49], s[0:1], v[18:19] neg_lo:[1,0,0] neg_hi:[1,0,0]
	v_pk_fma_f32 v[18:19], v[48:49], s[0:1], v[18:19] neg_lo:[0,0,1] neg_hi:[0,0,1]
	v_mov_b32_e32 v117, v125
	v_mov_b32_e32 v125, v19
	v_pk_fma_f32 v[18:19], v[4:5], s[2:3], v[30:31] neg_lo:[0,0,1] neg_hi:[0,0,1]
	v_pk_fma_f32 v[24:25], v[40:41], s[2:3], v[24:25] neg_lo:[0,0,1] neg_hi:[0,0,1]
	v_mov_b32_e32 v93, v19
	v_pk_fma_f32 v[18:19], v[34:35], s[12:13], v[96:97] neg_lo:[0,0,1] neg_hi:[0,0,1]
	v_mov_b32_e32 v123, v21
	v_mov_b32_e32 v101, v19
	v_pk_add_f32 v[18:19], v[92:93], v[2:3]
	v_pk_fma_f32 v[20:21], v[40:41], s[4:5], v[98:99] neg_lo:[0,0,1] neg_hi:[0,0,1]
	v_pk_add_f32 v[8:9], v[118:119], v[8:9]
	v_mov_b32_e32 v121, v25
	v_pk_add_f32 v[18:19], v[100:101], v[18:19]
	v_mov_b32_e32 v105, v21
	v_pk_fma_f32 v[20:21], v[44:45], s[6:7], v[102:103] neg_lo:[0,0,1] neg_hi:[0,0,1]
	v_pk_add_f32 v[8:9], v[120:121], v[8:9]
	v_pk_add_f32 v[18:19], v[104:105], v[18:19]
	v_mov_b32_e32 v109, v21
	v_pk_fma_f32 v[20:21], v[48:49], s[10:11], v[106:107] neg_lo:[0,0,1] neg_hi:[0,0,1]
	v_pk_add_f32 v[8:9], v[122:123], v[8:9]
	v_pk_add_f32 v[18:19], v[108:109], v[18:19]
	v_mov_b32_e32 v113, v21
	v_pk_add_f32 v[8:9], v[124:125], v[8:9]
	v_pk_add_f32 v[18:19], v[112:113], v[18:19]
	ds_write2_b64 v39, v[8:9], v[18:19] offset0:66 offset1:77
	v_pk_fma_f32 v[18:19], v[40:41], s[10:11], v[80:81] neg_lo:[0,0,1] neg_hi:[0,0,1]
	v_pk_fma_f32 v[8:9], v[4:5], s[0:1], v[70:71] neg_lo:[0,0,1] neg_hi:[0,0,1]
	v_mov_b32_e32 v87, v19
	v_pk_fma_f32 v[18:19], v[44:45], s[4:5], v[84:85] neg_lo:[0,0,1] neg_hi:[0,0,1]
	v_mov_b32_e32 v77, v9
	v_mov_b32_e32 v91, v19
	v_pk_fma_f32 v[18:19], v[48:49], s[2:3], v[88:89] neg_lo:[0,0,1] neg_hi:[0,0,1]
	v_pk_fma_f32 v[8:9], v[34:35], s[28:29], v[78:79] neg_lo:[0,0,1] neg_hi:[0,0,1]
	v_mov_b32_e32 v95, v19
	v_pk_fma_f32 v[18:19], v[4:5], s[22:23], v[26:27] neg_lo:[0,0,1] neg_hi:[0,0,1]
	v_pk_fma_f32 v[4:5], v[4:5], s[4:5], v[16:17] neg_lo:[0,0,1] neg_hi:[0,0,1]
	v_mov_b32_e32 v53, v19
	v_pk_fma_f32 v[18:19], v[34:35], s[2:3], v[56:57] neg_lo:[0,0,1] neg_hi:[0,0,1]
	v_mov_b32_e32 v33, v5
	;; [unrolled: 2-line block ×3, first 2 shown]
	v_pk_add_f32 v[8:9], v[76:77], v[2:3]
	v_mov_b32_e32 v61, v19
	v_pk_add_f32 v[18:19], v[52:53], v[2:3]
	v_pk_add_f32 v[2:3], v[32:33], v[2:3]
	v_mov_b32_e32 v43, v5
	v_pk_fma_f32 v[4:5], v[40:41], s[0:1], v[10:11] neg_lo:[0,0,1] neg_hi:[0,0,1]
	v_pk_add_f32 v[2:3], v[42:43], v[2:3]
	v_mov_b32_e32 v47, v5
	v_pk_fma_f32 v[4:5], v[44:45], s[2:3], v[12:13] neg_lo:[0,0,1] neg_hi:[0,0,1]
	;; [unrolled: 3-line block ×3, first 2 shown]
	v_pk_fma_f32 v[20:21], v[40:41], s[28:29], v[58:59] neg_lo:[0,0,1] neg_hi:[0,0,1]
	v_pk_add_f32 v[2:3], v[50:51], v[2:3]
	v_mov_b32_e32 v55, v5
	v_mov_b32_e32 v65, v21
	v_pk_fma_f32 v[20:21], v[44:45], s[12:13], v[62:63] neg_lo:[0,0,1] neg_hi:[0,0,1]
	v_pk_add_f32 v[2:3], v[54:55], v[2:3]
	v_mul_u32_u24_e32 v62, 0x21e, v0
	v_pk_add_f32 v[8:9], v[82:83], v[8:9]
	v_pk_add_f32 v[18:19], v[60:61], v[18:19]
	ds_write_b64 v39, v[2:3] offset:880
	v_mul_lo_u16_sdwa v2, v62, s25 dst_sel:DWORD dst_unused:UNUSED_PAD src0_sel:WORD_1 src1_sel:DWORD
	v_pk_add_f32 v[8:9], v[86:87], v[8:9]
	v_pk_add_f32 v[18:19], v[64:65], v[18:19]
	v_mov_b32_e32 v69, v21
	v_pk_fma_f32 v[20:21], v[48:49], s[8:9], v[66:67] neg_lo:[0,0,1] neg_hi:[0,0,1]
	v_sub_u16_e32 v2, v0, v2
	v_pk_add_f32 v[8:9], v[90:91], v[8:9]
	v_pk_add_f32 v[18:19], v[68:69], v[18:19]
	v_mov_b32_e32 v73, v21
	v_mul_lo_u16_e32 v2, 10, v2
	v_pk_add_f32 v[110:111], v[116:117], v[110:111]
	v_pk_add_f32 v[8:9], v[94:95], v[8:9]
	;; [unrolled: 1-line block ×3, first 2 shown]
	v_lshlrev_b32_e32 v2, 3, v2
	ds_write2_b64 v39, v[74:75], v[110:111] offset0:44 offset1:55
	ds_write2_b64 v39, v[8:9], v[18:19] offset0:88 offset1:99
	s_waitcnt lgkmcnt(0)
	s_barrier
	global_load_dwordx4 v[8:11], v2, s[16:17] offset:880
	global_load_dwordx4 v[12:15], v2, s[16:17] offset:896
	;; [unrolled: 1-line block ×5, first 2 shown]
	ds_read2_b64 v[2:5], v1 offset1:121
	ds_read2_b64 v[28:31], v6 offset0:114 offset1:235
	ds_read2_b64 v[32:35], v36 offset0:100 offset1:221
	;; [unrolled: 1-line block ×4, first 2 shown]
	ds_read_b64 v[44:45], v1 offset:9680
	s_movk_i32 s9, 0x4ba
	v_mul_lo_u16_sdwa v1, v62, s9 dst_sel:DWORD dst_unused:UNUSED_PAD src0_sel:WORD_1 src1_sel:DWORD
	v_add_u32_e32 v0, v0, v1
	v_mul_lo_u32 v6, v0, s51
	s_mov_b32 s16, s23
	s_add_u32 s9, s14, s20
	s_addc_u32 s11, s15, s21
	s_lshl_b64 s[14:15], s[26:27], 3
	s_add_u32 s9, s9, s14
	s_addc_u32 s11, s11, s15
	s_lshl_b64 s[14:15], s[18:19], 3
	s_add_u32 s14, s9, s14
	s_addc_u32 s15, s11, s15
	s_mov_b32 s18, s7
	s_mulk_i32 s51, 0x79
	s_waitcnt vmcnt(4) lgkmcnt(5)
	v_pk_mul_f32 v[46:47], v[8:9], v[4:5] op_sel:[0,1]
	s_nop 0
	v_pk_fma_f32 v[48:49], v[8:9], v[4:5], v[46:47] op_sel:[0,0,1] op_sel_hi:[1,1,0] neg_lo:[0,0,1] neg_hi:[0,0,1]
	v_pk_fma_f32 v[4:5], v[8:9], v[4:5], v[46:47] op_sel:[0,0,1] op_sel_hi:[1,0,0]
	s_nop 0
	v_mov_b32_e32 v49, v5
	s_waitcnt lgkmcnt(4)
	v_pk_mul_f32 v[4:5], v[10:11], v[28:29] op_sel:[0,1]
	v_pk_add_f32 v[0:1], v[48:49], v[2:3]
	v_pk_fma_f32 v[46:47], v[10:11], v[28:29], v[4:5] op_sel:[0,0,1] op_sel_hi:[1,1,0] neg_lo:[0,0,1] neg_hi:[0,0,1]
	v_pk_fma_f32 v[4:5], v[10:11], v[28:29], v[4:5] op_sel:[0,0,1] op_sel_hi:[1,0,0]
	s_nop 0
	v_mov_b32_e32 v47, v5
	s_waitcnt vmcnt(3)
	v_pk_mul_f32 v[4:5], v[12:13], v[30:31] op_sel:[0,1]
	v_pk_add_f32 v[0:1], v[0:1], v[46:47]
	v_pk_fma_f32 v[28:29], v[12:13], v[30:31], v[4:5] op_sel:[0,0,1] op_sel_hi:[1,1,0] neg_lo:[0,0,1] neg_hi:[0,0,1]
	v_pk_fma_f32 v[4:5], v[12:13], v[30:31], v[4:5] op_sel:[0,0,1] op_sel_hi:[1,0,0]
	s_nop 0
	v_mov_b32_e32 v29, v5
	s_waitcnt lgkmcnt(3)
	v_pk_mul_f32 v[4:5], v[14:15], v[32:33] op_sel:[0,1]
	v_pk_add_f32 v[0:1], v[0:1], v[28:29]
	v_pk_fma_f32 v[30:31], v[14:15], v[32:33], v[4:5] op_sel:[0,0,1] op_sel_hi:[1,1,0] neg_lo:[0,0,1] neg_hi:[0,0,1]
	v_pk_fma_f32 v[4:5], v[14:15], v[32:33], v[4:5] op_sel:[0,0,1] op_sel_hi:[1,0,0]
	s_nop 0
	v_mov_b32_e32 v31, v5
	s_waitcnt vmcnt(2)
	v_pk_mul_f32 v[4:5], v[16:17], v[34:35] op_sel:[0,1]
	v_pk_add_f32 v[0:1], v[0:1], v[30:31]
	v_pk_fma_f32 v[32:33], v[16:17], v[34:35], v[4:5] op_sel:[0,0,1] op_sel_hi:[1,1,0] neg_lo:[0,0,1] neg_hi:[0,0,1]
	v_pk_fma_f32 v[4:5], v[16:17], v[34:35], v[4:5] op_sel:[0,0,1] op_sel_hi:[1,0,0]
	s_nop 0
	v_mov_b32_e32 v33, v5
	s_waitcnt lgkmcnt(2)
	v_pk_mul_f32 v[4:5], v[18:19], v[40:41] op_sel:[0,1]
	v_pk_add_f32 v[0:1], v[0:1], v[32:33]
	v_pk_fma_f32 v[34:35], v[40:41], v[18:19], v[4:5] op_sel:[0,0,1] op_sel_hi:[1,1,0] neg_lo:[0,0,1] neg_hi:[0,0,1]
	v_pk_fma_f32 v[4:5], v[40:41], v[18:19], v[4:5] op_sel:[0,0,1] op_sel_hi:[0,1,0]
	v_mov_b32_e32 v35, v5
	s_waitcnt vmcnt(1)
	v_pk_mul_f32 v[4:5], v[20:21], v[42:43] op_sel:[0,1]
	v_pk_add_f32 v[0:1], v[0:1], v[34:35]
	v_pk_fma_f32 v[40:41], v[42:43], v[20:21], v[4:5] op_sel:[0,0,1] op_sel_hi:[1,1,0] neg_lo:[0,0,1] neg_hi:[0,0,1]
	v_pk_fma_f32 v[4:5], v[42:43], v[20:21], v[4:5] op_sel:[0,0,1] op_sel_hi:[0,1,0]
	v_mov_b32_e32 v41, v5
	s_waitcnt lgkmcnt(1)
	v_pk_mul_f32 v[4:5], v[22:23], v[36:37] op_sel:[0,1]
	v_pk_add_f32 v[0:1], v[0:1], v[40:41]
	v_pk_fma_f32 v[20:21], v[36:37], v[22:23], v[4:5] op_sel:[0,0,1] op_sel_hi:[1,1,0] neg_lo:[0,0,1] neg_hi:[0,0,1]
	v_pk_fma_f32 v[4:5], v[36:37], v[22:23], v[4:5] op_sel:[0,0,1] op_sel_hi:[0,1,0]
	v_mov_b32_e32 v21, v5
	s_waitcnt vmcnt(0)
	v_pk_mul_f32 v[4:5], v[24:25], v[38:39] op_sel:[0,1]
	v_pk_add_f32 v[16:17], v[28:29], v[20:21] neg_lo:[0,1] neg_hi:[0,1]
	v_pk_fma_f32 v[22:23], v[38:39], v[24:25], v[4:5] op_sel:[0,0,1] op_sel_hi:[1,1,0] neg_lo:[0,0,1] neg_hi:[0,0,1]
	v_pk_fma_f32 v[4:5], v[38:39], v[24:25], v[4:5] op_sel:[0,0,1] op_sel_hi:[0,1,0]
	v_mov_b32_e32 v23, v5
	s_waitcnt lgkmcnt(0)
	v_pk_mul_f32 v[4:5], v[26:27], v[44:45] op_sel:[0,1]
	v_pk_add_f32 v[14:15], v[46:47], v[22:23] neg_lo:[0,1] neg_hi:[0,1]
	v_pk_fma_f32 v[24:25], v[44:45], v[26:27], v[4:5] op_sel:[0,0,1] op_sel_hi:[1,1,0] neg_lo:[0,0,1] neg_hi:[0,0,1]
	v_pk_fma_f32 v[4:5], v[44:45], v[26:27], v[4:5] op_sel:[0,0,1] op_sel_hi:[0,1,0]
	v_mov_b32_e32 v25, v5
	v_pk_add_f32 v[12:13], v[48:49], v[24:25] neg_lo:[0,1] neg_hi:[0,1]
	v_pk_add_f32 v[4:5], v[48:49], v[24:25]
	v_pk_mul_f32 v[26:27], v[12:13], s[4:5] op_sel:[1,0] op_sel_hi:[0,0]
	v_pk_mul_f32 v[36:37], v[14:15], s[22:23] op_sel:[1,0] op_sel_hi:[0,0]
	v_pk_add_f32 v[8:9], v[46:47], v[22:23]
	v_pk_fma_f32 v[44:45], v[4:5], s[34:35], v[26:27] op_sel_hi:[1,0,1]
	v_pk_fma_f32 v[26:27], v[4:5], s[34:35], v[26:27] op_sel_hi:[1,0,1] neg_lo:[0,0,1] neg_hi:[0,0,1]
	v_mov_b32_e32 v50, v44
	v_mov_b32_e32 v51, v27
	v_pk_fma_f32 v[52:53], v[8:9], s[16:17], v[36:37] op_sel_hi:[1,0,1]
	v_pk_fma_f32 v[36:37], v[8:9], s[16:17], v[36:37] op_sel_hi:[1,0,1] neg_lo:[0,0,1] neg_hi:[0,0,1]
	v_pk_mul_f32 v[38:39], v[16:17], s[0:1] op_sel:[1,0] op_sel_hi:[0,0]
	v_pk_add_f32 v[10:11], v[28:29], v[20:21]
	v_pk_add_f32 v[50:51], v[50:51], v[2:3]
	v_mov_b32_e32 v54, v52
	v_mov_b32_e32 v55, v37
	v_pk_add_f32 v[50:51], v[54:55], v[50:51]
	v_pk_fma_f32 v[54:55], v[10:11], s[30:31], v[38:39] op_sel_hi:[1,0,1]
	v_pk_fma_f32 v[38:39], v[10:11], s[30:31], v[38:39] op_sel_hi:[1,0,1] neg_lo:[0,0,1] neg_hi:[0,0,1]
	v_pk_add_f32 v[18:19], v[30:31], v[40:41] neg_lo:[0,1] neg_hi:[0,1]
	v_mov_b32_e32 v56, v54
	v_mov_b32_e32 v57, v39
	v_pk_add_f32 v[0:1], v[0:1], v[20:21]
	v_mov_b32_e32 v27, v45
	v_pk_mul_f32 v[42:43], v[18:19], s[2:3] op_sel:[1,0] op_sel_hi:[0,0]
	v_pk_add_f32 v[50:51], v[56:57], v[50:51]
	v_pk_add_f32 v[56:57], v[30:31], v[40:41]
	v_pk_add_f32 v[30:31], v[32:33], v[34:35] neg_lo:[0,1] neg_hi:[0,1]
	v_pk_add_f32 v[0:1], v[0:1], v[22:23]
	v_pk_add_f32 v[26:27], v[26:27], v[2:3]
	v_mov_b32_e32 v37, v53
	v_pk_fma_f32 v[58:59], v[56:57], s[36:37], v[42:43] op_sel_hi:[1,0,1]
	v_pk_fma_f32 v[42:43], v[56:57], s[36:37], v[42:43] op_sel_hi:[1,0,1] neg_lo:[0,0,1] neg_hi:[0,0,1]
	v_lshl_add_u64 v[46:47], v[6:7], 3, s[14:15]
	v_pk_add_f32 v[32:33], v[32:33], v[34:35]
	v_pk_add_f32 v[0:1], v[0:1], v[24:25]
	v_pk_mul_f32 v[24:25], v[30:31], s[6:7] op_sel:[1,0] op_sel_hi:[0,0]
	v_pk_add_f32 v[26:27], v[36:37], v[26:27]
	v_mov_b32_e32 v39, v55
	v_mov_b32_e32 v61, v43
	global_store_dwordx2 v[46:47], v[0:1], off
	v_pk_fma_f32 v[0:1], v[32:33], s[18:19], v[24:25] op_sel_hi:[1,0,1]
	v_pk_fma_f32 v[24:25], v[32:33], s[18:19], v[24:25] op_sel_hi:[1,0,1] neg_lo:[0,0,1] neg_hi:[0,0,1]
	v_pk_add_f32 v[26:27], v[38:39], v[26:27]
	v_mov_b32_e32 v43, v59
	v_add_u32_e32 v6, s51, v6
	v_mov_b32_e32 v47, v25
	v_pk_add_f32 v[26:27], v[42:43], v[26:27]
	v_mov_b32_e32 v25, v1
	v_lshl_add_u64 v[28:29], v[6:7], 3, s[14:15]
	v_mov_b32_e32 v46, v0
	v_pk_add_f32 v[0:1], v[24:25], v[26:27]
	global_store_dwordx2 v[28:29], v[0:1], off
	v_pk_mul_f32 v[0:1], v[12:13], s[22:23] op_sel:[1,0] op_sel_hi:[0,0]
	v_pk_mul_f32 v[24:25], v[14:15], s[2:3] op_sel:[1,0] op_sel_hi:[0,0]
	v_pk_fma_f32 v[38:39], v[4:5], s[16:17], v[0:1] op_sel_hi:[1,0,1]
	v_pk_fma_f32 v[0:1], v[4:5], s[16:17], v[0:1] op_sel_hi:[1,0,1] neg_lo:[0,0,1] neg_hi:[0,0,1]
	v_mov_b32_e32 v42, v38
	v_mov_b32_e32 v43, v1
	v_pk_fma_f32 v[44:45], v[8:9], s[36:37], v[24:25] op_sel_hi:[1,0,1]
	v_pk_fma_f32 v[24:25], v[8:9], s[36:37], v[24:25] op_sel_hi:[1,0,1] neg_lo:[0,0,1] neg_hi:[0,0,1]
	v_mov_b32_e32 v60, v58
	v_pk_mul_f32 v[26:27], v[16:17], s[28:29] op_sel:[1,0] op_sel_hi:[0,0]
	v_pk_add_f32 v[42:43], v[42:43], v[2:3]
	v_mov_b32_e32 v48, v44
	v_mov_b32_e32 v49, v25
	v_pk_add_f32 v[50:51], v[60:61], v[50:51]
	v_pk_add_f32 v[42:43], v[48:49], v[42:43]
	v_pk_fma_f32 v[48:49], v[10:11], s[18:19], v[26:27] op_sel_hi:[1,0,1]
	v_pk_fma_f32 v[26:27], v[10:11], s[18:19], v[26:27] op_sel_hi:[1,0,1] neg_lo:[0,0,1] neg_hi:[0,0,1]
	v_pk_add_f32 v[46:47], v[46:47], v[50:51]
	v_pk_mul_f32 v[28:29], v[18:19], s[12:13] op_sel:[1,0] op_sel_hi:[0,0]
	v_mov_b32_e32 v50, v48
	v_mov_b32_e32 v51, v27
	;; [unrolled: 1-line block ×3, first 2 shown]
	v_pk_add_f32 v[42:43], v[50:51], v[42:43]
	v_pk_fma_f32 v[50:51], v[56:57], s[30:31], v[28:29] op_sel_hi:[1,0,1]
	v_pk_fma_f32 v[28:29], v[56:57], s[30:31], v[28:29] op_sel_hi:[1,0,1] neg_lo:[0,0,1] neg_hi:[0,0,1]
	v_pk_add_f32 v[0:1], v[0:1], v[2:3]
	v_mov_b32_e32 v25, v45
	v_pk_mul_f32 v[36:37], v[30:31], s[8:9] op_sel:[1,0] op_sel_hi:[0,0]
	v_mov_b32_e32 v52, v50
	v_mov_b32_e32 v53, v29
	v_pk_add_f32 v[0:1], v[24:25], v[0:1]
	v_mov_b32_e32 v27, v49
	v_pk_add_f32 v[42:43], v[52:53], v[42:43]
	v_pk_fma_f32 v[52:53], v[32:33], s[34:35], v[36:37] op_sel_hi:[1,0,1]
	v_pk_fma_f32 v[36:37], v[32:33], s[34:35], v[36:37] op_sel_hi:[1,0,1] neg_lo:[0,0,1] neg_hi:[0,0,1]
	v_pk_add_f32 v[0:1], v[26:27], v[0:1]
	v_mov_b32_e32 v29, v51
	v_add_u32_e32 v6, s51, v6
	v_mov_b32_e32 v55, v37
	v_pk_add_f32 v[0:1], v[28:29], v[0:1]
	v_mov_b32_e32 v37, v53
	v_lshl_add_u64 v[34:35], v[6:7], 3, s[14:15]
	v_pk_add_f32 v[0:1], v[36:37], v[0:1]
	global_store_dwordx2 v[34:35], v[0:1], off
	v_pk_mul_f32 v[0:1], v[12:13], s[0:1] op_sel:[1,0] op_sel_hi:[0,0]
	v_pk_mul_f32 v[24:25], v[14:15], s[28:29] op_sel:[1,0] op_sel_hi:[0,0]
	v_pk_fma_f32 v[36:37], v[4:5], s[30:31], v[0:1] op_sel_hi:[1,0,1]
	v_pk_fma_f32 v[0:1], v[4:5], s[30:31], v[0:1] op_sel_hi:[1,0,1] neg_lo:[0,0,1] neg_hi:[0,0,1]
	v_mov_b32_e32 v38, v36
	v_mov_b32_e32 v39, v1
	v_pk_fma_f32 v[44:45], v[8:9], s[18:19], v[24:25] op_sel_hi:[1,0,1]
	v_pk_fma_f32 v[24:25], v[8:9], s[18:19], v[24:25] op_sel_hi:[1,0,1] neg_lo:[0,0,1] neg_hi:[0,0,1]
	v_pk_mul_f32 v[26:27], v[16:17], s[10:11] op_sel:[1,0] op_sel_hi:[0,0]
	v_pk_add_f32 v[38:39], v[38:39], v[2:3]
	v_mov_b32_e32 v48, v44
	v_mov_b32_e32 v49, v25
	v_pk_add_f32 v[38:39], v[48:49], v[38:39]
	v_pk_fma_f32 v[48:49], v[10:11], s[16:17], v[26:27] op_sel_hi:[1,0,1]
	v_pk_fma_f32 v[26:27], v[10:11], s[16:17], v[26:27] op_sel_hi:[1,0,1] neg_lo:[0,0,1] neg_hi:[0,0,1]
	v_pk_mul_f32 v[28:29], v[18:19], s[4:5] op_sel:[1,0] op_sel_hi:[0,0]
	v_mov_b32_e32 v50, v48
	v_mov_b32_e32 v51, v27
	;; [unrolled: 1-line block ×3, first 2 shown]
	v_pk_add_f32 v[38:39], v[50:51], v[38:39]
	v_pk_fma_f32 v[50:51], v[56:57], s[34:35], v[28:29] op_sel_hi:[1,0,1]
	v_pk_fma_f32 v[28:29], v[56:57], s[34:35], v[28:29] op_sel_hi:[1,0,1] neg_lo:[0,0,1] neg_hi:[0,0,1]
	v_pk_add_f32 v[0:1], v[0:1], v[2:3]
	v_mov_b32_e32 v25, v45
	v_mov_b32_e32 v54, v52
	v_pk_mul_f32 v[34:35], v[30:31], s[2:3] op_sel:[1,0] op_sel_hi:[0,0]
	v_mov_b32_e32 v52, v50
	v_mov_b32_e32 v53, v29
	v_pk_add_f32 v[0:1], v[24:25], v[0:1]
	v_mov_b32_e32 v27, v49
	v_pk_add_f32 v[38:39], v[52:53], v[38:39]
	v_pk_fma_f32 v[52:53], v[32:33], s[36:37], v[34:35] op_sel_hi:[1,0,1]
	v_pk_fma_f32 v[34:35], v[32:33], s[36:37], v[34:35] op_sel_hi:[1,0,1] neg_lo:[0,0,1] neg_hi:[0,0,1]
	v_pk_add_f32 v[0:1], v[26:27], v[0:1]
	v_mov_b32_e32 v29, v51
	v_add_u32_e32 v6, s51, v6
	v_pk_add_f32 v[42:43], v[54:55], v[42:43]
	v_mov_b32_e32 v55, v35
	v_pk_add_f32 v[0:1], v[28:29], v[0:1]
	v_mov_b32_e32 v35, v53
	v_lshl_add_u64 v[40:41], v[6:7], 3, s[14:15]
	v_pk_add_f32 v[0:1], v[34:35], v[0:1]
	global_store_dwordx2 v[40:41], v[0:1], off
	v_pk_mul_f32 v[0:1], v[12:13], s[2:3] op_sel:[1,0] op_sel_hi:[0,0]
	v_pk_mul_f32 v[24:25], v[14:15], s[12:13] op_sel:[1,0] op_sel_hi:[0,0]
	v_pk_fma_f32 v[36:37], v[4:5], s[36:37], v[0:1] op_sel_hi:[1,0,1]
	v_pk_fma_f32 v[0:1], v[4:5], s[36:37], v[0:1] op_sel_hi:[1,0,1] neg_lo:[0,0,1] neg_hi:[0,0,1]
	v_mov_b32_e32 v40, v36
	v_mov_b32_e32 v41, v1
	v_pk_fma_f32 v[44:45], v[8:9], s[30:31], v[24:25] op_sel_hi:[1,0,1]
	v_pk_fma_f32 v[24:25], v[8:9], s[30:31], v[24:25] op_sel_hi:[1,0,1] neg_lo:[0,0,1] neg_hi:[0,0,1]
	v_pk_mul_f32 v[26:27], v[16:17], s[4:5] op_sel:[1,0] op_sel_hi:[0,0]
	v_pk_add_f32 v[40:41], v[40:41], v[2:3]
	v_mov_b32_e32 v48, v44
	v_mov_b32_e32 v49, v25
	v_pk_add_f32 v[40:41], v[48:49], v[40:41]
	v_pk_fma_f32 v[48:49], v[10:11], s[34:35], v[26:27] op_sel_hi:[1,0,1]
	v_pk_fma_f32 v[26:27], v[10:11], s[34:35], v[26:27] op_sel_hi:[1,0,1] neg_lo:[0,0,1] neg_hi:[0,0,1]
	v_pk_mul_f32 v[28:29], v[18:19], s[6:7] op_sel:[1,0] op_sel_hi:[0,0]
	v_mov_b32_e32 v50, v48
	v_mov_b32_e32 v51, v27
	;; [unrolled: 1-line block ×3, first 2 shown]
	v_pk_add_f32 v[40:41], v[50:51], v[40:41]
	v_pk_fma_f32 v[50:51], v[56:57], s[18:19], v[28:29] op_sel_hi:[1,0,1]
	v_pk_fma_f32 v[28:29], v[56:57], s[18:19], v[28:29] op_sel_hi:[1,0,1] neg_lo:[0,0,1] neg_hi:[0,0,1]
	v_mov_b32_e32 v25, v45
	v_pk_add_f32 v[0:1], v[0:1], v[2:3]
	v_mov_b32_e32 v54, v52
	v_pk_mul_f32 v[34:35], v[30:31], s[10:11] op_sel:[1,0] op_sel_hi:[0,0]
	v_mov_b32_e32 v52, v50
	v_mov_b32_e32 v53, v29
	v_pk_add_f32 v[0:1], v[24:25], v[0:1]
	v_mov_b32_e32 v27, v49
	v_pk_add_f32 v[40:41], v[52:53], v[40:41]
	v_pk_fma_f32 v[52:53], v[32:33], s[16:17], v[34:35] op_sel_hi:[1,0,1]
	v_pk_fma_f32 v[34:35], v[32:33], s[16:17], v[34:35] op_sel_hi:[1,0,1] neg_lo:[0,0,1] neg_hi:[0,0,1]
	v_pk_add_f32 v[0:1], v[26:27], v[0:1]
	v_mov_b32_e32 v29, v51
	v_add_u32_e32 v6, s51, v6
	v_pk_add_f32 v[38:39], v[54:55], v[38:39]
	v_mov_b32_e32 v55, v35
	v_pk_add_f32 v[0:1], v[28:29], v[0:1]
	v_mov_b32_e32 v35, v53
	v_lshl_add_u64 v[20:21], v[6:7], 3, s[14:15]
	v_pk_add_f32 v[0:1], v[34:35], v[0:1]
	global_store_dwordx2 v[20:21], v[0:1], off
	v_pk_mul_f32 v[0:1], v[12:13], s[6:7] op_sel:[1,0] op_sel_hi:[0,0]
	v_pk_mul_f32 v[12:13], v[14:15], s[8:9] op_sel:[1,0] op_sel_hi:[0,0]
	v_pk_fma_f32 v[20:21], v[4:5], s[18:19], v[0:1] op_sel_hi:[1,0,1]
	v_pk_fma_f32 v[0:1], v[4:5], s[18:19], v[0:1] op_sel_hi:[1,0,1] neg_lo:[0,0,1] neg_hi:[0,0,1]
	v_mov_b32_e32 v4, v20
	v_mov_b32_e32 v5, v1
	v_pk_fma_f32 v[26:27], v[8:9], s[34:35], v[12:13] op_sel_hi:[1,0,1]
	v_pk_fma_f32 v[8:9], v[8:9], s[34:35], v[12:13] op_sel_hi:[1,0,1] neg_lo:[0,0,1] neg_hi:[0,0,1]
	v_pk_mul_f32 v[14:15], v[16:17], s[2:3] op_sel:[1,0] op_sel_hi:[0,0]
	v_pk_add_f32 v[4:5], v[4:5], v[2:3]
	v_mov_b32_e32 v12, v26
	v_mov_b32_e32 v13, v9
	v_pk_add_f32 v[4:5], v[12:13], v[4:5]
	v_pk_fma_f32 v[12:13], v[10:11], s[36:37], v[14:15] op_sel_hi:[1,0,1]
	v_pk_fma_f32 v[10:11], v[10:11], s[36:37], v[14:15] op_sel_hi:[1,0,1] neg_lo:[0,0,1] neg_hi:[0,0,1]
	v_add_u32_e32 v6, s51, v6
	v_pk_mul_f32 v[16:17], v[18:19], s[10:11] op_sel:[1,0] op_sel_hi:[0,0]
	v_mov_b32_e32 v14, v12
	v_mov_b32_e32 v15, v11
	;; [unrolled: 1-line block ×3, first 2 shown]
	v_lshl_add_u64 v[22:23], v[6:7], 3, s[14:15]
	v_add_u32_e32 v6, s51, v6
	v_mov_b32_e32 v54, v52
	v_pk_add_f32 v[4:5], v[14:15], v[4:5]
	v_pk_fma_f32 v[14:15], v[56:57], s[16:17], v[16:17] op_sel_hi:[1,0,1]
	v_pk_fma_f32 v[16:17], v[56:57], s[16:17], v[16:17] op_sel_hi:[1,0,1] neg_lo:[0,0,1] neg_hi:[0,0,1]
	v_pk_add_f32 v[0:1], v[0:1], v[2:3]
	v_mov_b32_e32 v9, v27
	v_pk_add_f32 v[40:41], v[54:55], v[40:41]
	v_lshl_add_u64 v[54:55], v[6:7], 3, s[14:15]
	v_add_u32_e32 v6, s51, v6
	v_pk_mul_f32 v[18:19], v[30:31], s[0:1] op_sel:[1,0] op_sel_hi:[0,0]
	v_mov_b32_e32 v28, v14
	v_mov_b32_e32 v29, v17
	v_pk_add_f32 v[0:1], v[8:9], v[0:1]
	v_mov_b32_e32 v11, v13
	v_lshl_add_u64 v[36:37], v[6:7], 3, s[14:15]
	v_add_u32_e32 v6, s51, v6
	v_pk_add_f32 v[4:5], v[28:29], v[4:5]
	v_pk_fma_f32 v[28:29], v[32:33], s[30:31], v[18:19] op_sel_hi:[1,0,1]
	v_pk_fma_f32 v[18:19], v[32:33], s[30:31], v[18:19] op_sel_hi:[1,0,1] neg_lo:[0,0,1] neg_hi:[0,0,1]
	v_pk_add_f32 v[0:1], v[10:11], v[0:1]
	v_mov_b32_e32 v17, v15
	v_lshl_add_u64 v[44:45], v[6:7], 3, s[14:15]
	v_add_u32_e32 v6, s51, v6
	v_mov_b32_e32 v31, v19
	v_pk_add_f32 v[0:1], v[16:17], v[0:1]
	v_mov_b32_e32 v19, v29
	v_lshl_add_u64 v[24:25], v[6:7], 3, s[14:15]
	v_add_u32_e32 v6, s51, v6
	v_mov_b32_e32 v30, v28
	v_pk_add_f32 v[0:1], v[18:19], v[0:1]
	v_lshl_add_u64 v[6:7], v[6:7], 3, s[14:15]
	v_pk_add_f32 v[4:5], v[30:31], v[4:5]
	global_store_dwordx2 v[22:23], v[0:1], off
	global_store_dwordx2 v[54:55], v[4:5], off
	;; [unrolled: 1-line block ×6, first 2 shown]
	s_endpgm
	.section	.rodata,"a",@progbits
	.p2align	6, 0x0
	.amdhsa_kernel fft_rtc_fwd_len1331_factors_11_11_11_wgs_121_tpt_121_sp_op_CI_CI_sbrc_z_xy_unaligned_dirReg
		.amdhsa_group_segment_fixed_size 0
		.amdhsa_private_segment_fixed_size 0
		.amdhsa_kernarg_size 104
		.amdhsa_user_sgpr_count 2
		.amdhsa_user_sgpr_dispatch_ptr 0
		.amdhsa_user_sgpr_queue_ptr 0
		.amdhsa_user_sgpr_kernarg_segment_ptr 1
		.amdhsa_user_sgpr_dispatch_id 0
		.amdhsa_user_sgpr_kernarg_preload_length 0
		.amdhsa_user_sgpr_kernarg_preload_offset 0
		.amdhsa_user_sgpr_private_segment_size 0
		.amdhsa_uses_dynamic_stack 0
		.amdhsa_enable_private_segment 0
		.amdhsa_system_sgpr_workgroup_id_x 1
		.amdhsa_system_sgpr_workgroup_id_y 0
		.amdhsa_system_sgpr_workgroup_id_z 0
		.amdhsa_system_sgpr_workgroup_info 0
		.amdhsa_system_vgpr_workitem_id 0
		.amdhsa_next_free_vgpr 126
		.amdhsa_next_free_sgpr 53
		.amdhsa_accum_offset 128
		.amdhsa_reserve_vcc 1
		.amdhsa_float_round_mode_32 0
		.amdhsa_float_round_mode_16_64 0
		.amdhsa_float_denorm_mode_32 3
		.amdhsa_float_denorm_mode_16_64 3
		.amdhsa_dx10_clamp 1
		.amdhsa_ieee_mode 1
		.amdhsa_fp16_overflow 0
		.amdhsa_tg_split 0
		.amdhsa_exception_fp_ieee_invalid_op 0
		.amdhsa_exception_fp_denorm_src 0
		.amdhsa_exception_fp_ieee_div_zero 0
		.amdhsa_exception_fp_ieee_overflow 0
		.amdhsa_exception_fp_ieee_underflow 0
		.amdhsa_exception_fp_ieee_inexact 0
		.amdhsa_exception_int_div_zero 0
	.end_amdhsa_kernel
	.text
.Lfunc_end0:
	.size	fft_rtc_fwd_len1331_factors_11_11_11_wgs_121_tpt_121_sp_op_CI_CI_sbrc_z_xy_unaligned_dirReg, .Lfunc_end0-fft_rtc_fwd_len1331_factors_11_11_11_wgs_121_tpt_121_sp_op_CI_CI_sbrc_z_xy_unaligned_dirReg
                                        ; -- End function
	.section	.AMDGPU.csdata,"",@progbits
; Kernel info:
; codeLenInByte = 8192
; NumSgprs: 59
; NumVgprs: 126
; NumAgprs: 0
; TotalNumVgprs: 126
; ScratchSize: 0
; MemoryBound: 0
; FloatMode: 240
; IeeeMode: 1
; LDSByteSize: 0 bytes/workgroup (compile time only)
; SGPRBlocks: 7
; VGPRBlocks: 15
; NumSGPRsForWavesPerEU: 59
; NumVGPRsForWavesPerEU: 126
; AccumOffset: 128
; Occupancy: 4
; WaveLimiterHint : 1
; COMPUTE_PGM_RSRC2:SCRATCH_EN: 0
; COMPUTE_PGM_RSRC2:USER_SGPR: 2
; COMPUTE_PGM_RSRC2:TRAP_HANDLER: 0
; COMPUTE_PGM_RSRC2:TGID_X_EN: 1
; COMPUTE_PGM_RSRC2:TGID_Y_EN: 0
; COMPUTE_PGM_RSRC2:TGID_Z_EN: 0
; COMPUTE_PGM_RSRC2:TIDIG_COMP_CNT: 0
; COMPUTE_PGM_RSRC3_GFX90A:ACCUM_OFFSET: 31
; COMPUTE_PGM_RSRC3_GFX90A:TG_SPLIT: 0
	.text
	.p2alignl 6, 3212836864
	.fill 256, 4, 3212836864
	.type	__hip_cuid_5144b37fe5ec888d,@object ; @__hip_cuid_5144b37fe5ec888d
	.section	.bss,"aw",@nobits
	.globl	__hip_cuid_5144b37fe5ec888d
__hip_cuid_5144b37fe5ec888d:
	.byte	0                               ; 0x0
	.size	__hip_cuid_5144b37fe5ec888d, 1

	.ident	"AMD clang version 19.0.0git (https://github.com/RadeonOpenCompute/llvm-project roc-6.4.0 25133 c7fe45cf4b819c5991fe208aaa96edf142730f1d)"
	.section	".note.GNU-stack","",@progbits
	.addrsig
	.addrsig_sym __hip_cuid_5144b37fe5ec888d
	.amdgpu_metadata
---
amdhsa.kernels:
  - .agpr_count:     0
    .args:
      - .actual_access:  read_only
        .address_space:  global
        .offset:         0
        .size:           8
        .value_kind:     global_buffer
      - .offset:         8
        .size:           8
        .value_kind:     by_value
      - .actual_access:  read_only
        .address_space:  global
        .offset:         16
        .size:           8
        .value_kind:     global_buffer
      - .actual_access:  read_only
        .address_space:  global
        .offset:         24
        .size:           8
        .value_kind:     global_buffer
      - .actual_access:  read_only
        .address_space:  global
        .offset:         32
        .size:           8
        .value_kind:     global_buffer
      - .offset:         40
        .size:           8
        .value_kind:     by_value
      - .actual_access:  read_only
        .address_space:  global
        .offset:         48
        .size:           8
        .value_kind:     global_buffer
      - .actual_access:  read_only
        .address_space:  global
        .offset:         56
        .size:           8
        .value_kind:     global_buffer
      - .offset:         64
        .size:           4
        .value_kind:     by_value
      - .actual_access:  read_only
        .address_space:  global
        .offset:         72
        .size:           8
        .value_kind:     global_buffer
      - .actual_access:  read_only
        .address_space:  global
        .offset:         80
        .size:           8
        .value_kind:     global_buffer
      - .actual_access:  read_only
        .address_space:  global
        .offset:         88
        .size:           8
        .value_kind:     global_buffer
      - .actual_access:  write_only
        .address_space:  global
        .offset:         96
        .size:           8
        .value_kind:     global_buffer
    .group_segment_fixed_size: 0
    .kernarg_segment_align: 8
    .kernarg_segment_size: 104
    .language:       OpenCL C
    .language_version:
      - 2
      - 0
    .max_flat_workgroup_size: 121
    .name:           fft_rtc_fwd_len1331_factors_11_11_11_wgs_121_tpt_121_sp_op_CI_CI_sbrc_z_xy_unaligned_dirReg
    .private_segment_fixed_size: 0
    .sgpr_count:     59
    .sgpr_spill_count: 0
    .symbol:         fft_rtc_fwd_len1331_factors_11_11_11_wgs_121_tpt_121_sp_op_CI_CI_sbrc_z_xy_unaligned_dirReg.kd
    .uniform_work_group_size: 1
    .uses_dynamic_stack: false
    .vgpr_count:     126
    .vgpr_spill_count: 0
    .wavefront_size: 64
amdhsa.target:   amdgcn-amd-amdhsa--gfx950
amdhsa.version:
  - 1
  - 2
...

	.end_amdgpu_metadata
